;; amdgpu-corpus repo=ROCm/rocFFT kind=compiled arch=gfx906 opt=O3
	.text
	.amdgcn_target "amdgcn-amd-amdhsa--gfx906"
	.amdhsa_code_object_version 6
	.protected	fft_rtc_back_len128_factors_8_4_4_wgs_128_tpt_16_sp_op_CI_CI_sbrc_z_xy_unaligned_dirReg ; -- Begin function fft_rtc_back_len128_factors_8_4_4_wgs_128_tpt_16_sp_op_CI_CI_sbrc_z_xy_unaligned_dirReg
	.globl	fft_rtc_back_len128_factors_8_4_4_wgs_128_tpt_16_sp_op_CI_CI_sbrc_z_xy_unaligned_dirReg
	.p2align	8
	.type	fft_rtc_back_len128_factors_8_4_4_wgs_128_tpt_16_sp_op_CI_CI_sbrc_z_xy_unaligned_dirReg,@function
fft_rtc_back_len128_factors_8_4_4_wgs_128_tpt_16_sp_op_CI_CI_sbrc_z_xy_unaligned_dirReg: ; @fft_rtc_back_len128_factors_8_4_4_wgs_128_tpt_16_sp_op_CI_CI_sbrc_z_xy_unaligned_dirReg
; %bb.0:
	s_load_dwordx8 s[8:15], s[4:5], 0x0
	s_waitcnt lgkmcnt(0)
	s_load_dwordx4 s[16:19], s[12:13], 0x8
	s_nop 0
	s_load_dwordx2 s[12:13], s[4:5], 0x20
	s_load_dwordx4 s[20:23], s[14:15], 0x0
	s_load_dword s3, s[14:15], 0x10
	s_waitcnt lgkmcnt(0)
	s_add_i32 s0, s16, -1
	s_lshr_b32 s0, s0, 3
	s_add_i32 s1, s0, 1
	s_mul_i32 s2, s1, s18
	v_cvt_f32_u32_e32 v2, s2
	v_cvt_f32_u32_e32 v1, s1
	s_sub_i32 s7, 0, s2
	v_rcp_iflag_f32_e32 v2, v2
	v_rcp_iflag_f32_e32 v1, v1
	v_mul_f32_e32 v2, 0x4f7ffffe, v2
	v_cvt_u32_f32_e32 v2, v2
	v_mul_f32_e32 v1, 0x4f7ffffe, v1
	v_cvt_u32_f32_e32 v1, v1
	v_readfirstlane_b32 s17, v2
	s_mul_i32 s7, s7, s17
	s_mul_hi_u32 s7, s17, s7
	s_add_i32 s17, s17, s7
	s_mul_hi_u32 s7, s6, s17
	s_mul_i32 s17, s7, s2
	s_sub_i32 s17, s6, s17
	s_add_i32 s19, s7, 1
	s_sub_i32 s23, s17, s2
	s_cmp_ge_u32 s17, s2
	s_cselect_b32 s7, s19, s7
	s_cselect_b32 s17, s23, s17
	s_add_i32 s19, s7, 1
	s_cmp_ge_u32 s17, s2
	v_readfirstlane_b32 s18, v1
	s_cselect_b32 s17, s19, s7
	s_not_b32 s0, s0
	s_mul_i32 s0, s0, s18
	s_mul_i32 s2, s17, s2
	s_mul_hi_u32 s0, s18, s0
	s_sub_i32 s2, s6, s2
	s_add_i32 s18, s18, s0
	s_mul_hi_u32 s0, s2, s18
	s_mul_i32 s7, s0, s1
	s_sub_i32 s2, s2, s7
	s_add_i32 s19, s0, 1
	s_sub_i32 s7, s2, s1
	s_cmp_ge_u32 s2, s1
	s_cselect_b32 s0, s19, s0
	s_cselect_b32 s2, s7, s2
	s_add_i32 s7, s0, 1
	s_cmp_ge_u32 s2, s1
	s_cselect_b32 s28, s7, s0
	s_mul_hi_u32 s0, s6, s18
	s_mul_i32 s0, s0, s1
	s_sub_i32 s0, s6, s0
	s_sub_i32 s2, s0, s1
	s_cmp_ge_u32 s0, s1
	s_cselect_b32 s0, s2, s0
	s_sub_i32 s2, s0, s1
	s_cmp_ge_u32 s0, s1
	s_cselect_b32 s0, s2, s0
	s_lshl_b32 s29, s0, 3
	s_mul_i32 s1, s28, s3
	s_mul_i32 s0, s29, s22
	s_add_i32 s23, s0, s1
	s_lshl_b64 s[10:11], s[10:11], 3
	s_add_u32 s18, s14, s10
	s_addc_u32 s19, s15, s11
	s_load_dwordx2 s[24:25], s[18:19], 0x0
	s_load_dwordx2 s[14:15], s[4:5], 0x58
	s_load_dwordx4 s[0:3], s[12:13], 0x0
	s_load_dwordx2 s[6:7], s[12:13], 0x10
	s_waitcnt lgkmcnt(0)
	s_mul_i32 s3, s25, s17
	s_mul_hi_u32 s7, s24, s17
	s_add_i32 s7, s7, s3
	s_mul_i32 s3, s24, s17
	s_add_u32 s18, s3, s23
	s_addc_u32 s19, s7, 0
	s_add_u32 s10, s12, s10
	s_addc_u32 s11, s13, s11
	s_load_dwordx2 s[10:11], s[10:11], 0x0
	s_add_i32 s3, s29, 8
	s_cmp_le_u32 s3, s16
	s_cselect_b64 s[12:13], -1, 0
	s_mov_b64 s[24:25], -1
	s_and_b64 vcc, exec, s[12:13]
	s_cbranch_vccnz .LBB0_5
; %bb.1:
	s_cmp_lt_u32 s29, s16
	s_cselect_b64 s[26:27], -1, 0
	s_and_saveexec_b64 s[24:25], s[26:27]
	s_cbranch_execz .LBB0_4
; %bb.2:
	v_mad_u64_u32 v[1:2], s[26:27], s20, v0, 0
	v_mov_b32_e32 v3, s29
	v_lshl_add_u32 v6, v0, 6, 0
	v_mad_u64_u32 v[4:5], s[26:27], s21, v0, v[2:3]
	s_lshl_b64 s[26:27], s[18:19], 3
	s_add_u32 s3, s14, s26
	v_mov_b32_e32 v2, v4
	v_lshlrev_b64 v[1:2], 3, v[1:2]
	s_addc_u32 s7, s15, s27
	v_mov_b32_e32 v5, s7
	v_add_co_u32_e32 v4, vcc, s3, v1
	v_addc_co_u32_e32 v5, vcc, v5, v2, vcc
	v_mov_b32_e32 v2, 0
	s_mov_b64 s[26:27], 0
	v_mov_b32_e32 v1, v2
.LBB0_3:                                ; =>This Inner Loop Header: Depth=1
	v_lshlrev_b64 v[7:8], 3, v[1:2]
	v_add_u32_e32 v3, 1, v3
	v_add_co_u32_e32 v7, vcc, v4, v7
	v_addc_co_u32_e32 v8, vcc, v5, v8, vcc
	global_load_dwordx2 v[7:8], v[7:8], off
	v_cmp_le_u32_e32 vcc, s16, v3
	v_add_u32_e32 v1, s22, v1
	s_or_b64 s[26:27], vcc, s[26:27]
	s_waitcnt vmcnt(0)
	ds_write_b64 v6, v[7:8]
	v_add_u32_e32 v6, 8, v6
	s_andn2_b64 exec, exec, s[26:27]
	s_cbranch_execnz .LBB0_3
.LBB0_4:
	s_or_b64 exec, exec, s[24:25]
	s_mov_b64 s[24:25], 0
.LBB0_5:
	s_andn2_b64 vcc, exec, s[24:25]
	s_cbranch_vccnz .LBB0_7
; %bb.6:
	v_mad_u64_u32 v[1:2], s[24:25], s20, v0, 0
	s_lshl_b64 s[18:19], s[18:19], 3
	s_add_u32 s3, s14, s18
	v_mad_u64_u32 v[2:3], s[20:21], s21, v0, v[2:3]
	s_addc_u32 s7, s15, s19
	v_mov_b32_e32 v3, s7
	v_lshlrev_b64 v[1:2], 3, v[1:2]
	s_mov_b32 s23, 0
	v_add_co_u32_e32 v1, vcc, s3, v1
	v_addc_co_u32_e32 v2, vcc, v3, v2, vcc
	s_lshl_b64 s[14:15], s[22:23], 3
	v_mov_b32_e32 v4, s15
	v_add_co_u32_e32 v3, vcc, s14, v1
	s_add_i32 s14, s22, s22
	s_mov_b32 s15, s23
	v_addc_co_u32_e32 v4, vcc, v2, v4, vcc
	s_lshl_b64 s[18:19], s[14:15], 3
	v_mov_b32_e32 v6, s19
	v_add_co_u32_e32 v5, vcc, s18, v1
	s_add_i32 s14, s14, s22
	v_addc_co_u32_e32 v6, vcc, v2, v6, vcc
	s_lshl_b64 s[18:19], s[14:15], 3
	v_mov_b32_e32 v8, s19
	v_add_co_u32_e32 v7, vcc, s18, v1
	s_add_i32 s14, s14, s22
	v_addc_co_u32_e32 v8, vcc, v2, v8, vcc
	s_lshl_b64 s[18:19], s[14:15], 3
	global_load_dwordx2 v[9:10], v[1:2], off
	global_load_dwordx2 v[11:12], v[3:4], off
	;; [unrolled: 1-line block ×4, first 2 shown]
	v_mov_b32_e32 v4, s19
	v_add_co_u32_e32 v3, vcc, s18, v1
	s_add_i32 s14, s14, s22
	v_addc_co_u32_e32 v4, vcc, v2, v4, vcc
	s_lshl_b64 s[18:19], s[14:15], 3
	v_mov_b32_e32 v6, s19
	v_add_co_u32_e32 v5, vcc, s18, v1
	s_add_i32 s14, s14, s22
	v_addc_co_u32_e32 v6, vcc, v2, v6, vcc
	s_lshl_b64 s[18:19], s[14:15], 3
	v_mov_b32_e32 v8, s19
	v_add_co_u32_e32 v7, vcc, s18, v1
	s_add_i32 s22, s14, s22
	v_addc_co_u32_e32 v8, vcc, v2, v8, vcc
	s_lshl_b64 s[14:15], s[22:23], 3
	v_mov_b32_e32 v17, s15
	v_add_co_u32_e32 v1, vcc, s14, v1
	v_addc_co_u32_e32 v2, vcc, v2, v17, vcc
	global_load_dwordx2 v[17:18], v[3:4], off
	global_load_dwordx2 v[19:20], v[5:6], off
	;; [unrolled: 1-line block ×4, first 2 shown]
	v_lshl_add_u32 v1, v0, 6, 0
	s_waitcnt vmcnt(6)
	ds_write2_b64 v1, v[9:10], v[11:12] offset1:1
	s_waitcnt vmcnt(4)
	ds_write2_b64 v1, v[13:14], v[15:16] offset0:2 offset1:3
	s_waitcnt vmcnt(2)
	ds_write2_b64 v1, v[17:18], v[19:20] offset0:4 offset1:5
	;; [unrolled: 2-line block ×3, first 2 shown]
.LBB0_7:
	v_and_b32_e32 v2, 7, v0
	v_lshrrev_b32_e32 v1, 3, v0
	v_lshlrev_b32_e32 v3, 6, v1
	v_lshlrev_b32_e32 v22, 3, v2
	v_add3_u32 v3, 0, v3, v22
	s_waitcnt lgkmcnt(0)
	s_barrier
	ds_read2st64_b64 v[4:7], v3 offset1:2
	ds_read2st64_b64 v[8:11], v3 offset0:8 offset1:10
	ds_read2st64_b64 v[12:15], v3 offset0:4 offset1:6
	;; [unrolled: 1-line block ×3, first 2 shown]
	s_movk_i32 s3, 0x1c0
	s_waitcnt lgkmcnt(0)
	v_sub_f32_e32 v8, v4, v8
	v_sub_f32_e32 v9, v5, v9
	v_sub_f32_e32 v17, v13, v17
	v_sub_f32_e32 v16, v12, v16
	v_sub_f32_e32 v10, v6, v10
	v_sub_f32_e32 v19, v15, v19
	v_add_f32_e32 v23, v8, v17
	v_sub_f32_e32 v11, v7, v11
	v_fma_f32 v12, v12, 2.0, -v16
	v_sub_f32_e32 v18, v14, v18
	v_fma_f32 v15, v15, 2.0, -v19
	;; [unrolled: 2-line block ×3, first 2 shown]
	v_add_f32_e32 v19, v10, v19
	v_fma_f32 v4, v4, 2.0, -v8
	v_fma_f32 v13, v13, 2.0, -v17
	;; [unrolled: 1-line block ×5, first 2 shown]
	v_sub_f32_e32 v18, v11, v18
	v_fma_f32 v10, v10, 2.0, -v19
	v_mov_b32_e32 v8, v16
	v_fma_f32 v5, v5, 2.0, -v9
	v_fma_f32 v7, v7, 2.0, -v11
	;; [unrolled: 1-line block ×3, first 2 shown]
	v_fmac_f32_e32 v8, 0xbf3504f3, v10
	v_mov_b32_e32 v9, v17
	v_sub_f32_e32 v20, v4, v12
	v_sub_f32_e32 v14, v6, v14
	v_fmac_f32_e32 v9, 0xbf3504f3, v11
	v_fmac_f32_e32 v8, 0x3f3504f3, v11
	v_sub_f32_e32 v21, v5, v13
	v_fma_f32 v12, v4, 2.0, -v20
	v_sub_f32_e32 v15, v7, v15
	v_fma_f32 v4, v6, 2.0, -v14
	v_fmac_f32_e32 v9, 0xbf3504f3, v10
	v_fma_f32 v10, v16, 2.0, -v8
	v_mov_b32_e32 v16, v23
	v_fma_f32 v13, v5, 2.0, -v21
	v_fma_f32 v5, v7, 2.0, -v15
	v_sub_f32_e32 v4, v12, v4
	v_fma_f32 v11, v17, 2.0, -v9
	v_fmac_f32_e32 v16, 0x3f3504f3, v19
	v_mov_b32_e32 v17, v24
	v_sub_f32_e32 v5, v13, v5
	v_fma_f32 v6, v12, 2.0, -v4
	v_add_f32_e32 v12, v20, v15
	v_fmac_f32_e32 v17, 0x3f3504f3, v18
	v_fmac_f32_e32 v16, 0x3f3504f3, v18
	v_fma_f32 v7, v13, 2.0, -v5
	v_sub_f32_e32 v13, v21, v14
	v_fma_f32 v14, v20, 2.0, -v12
	v_fmac_f32_e32 v17, 0xbf3504f3, v19
	v_fma_f32 v18, v23, 2.0, -v16
	v_mad_u32_u24 v20, v1, s3, v3
	v_bfe_u32 v23, v0, 3, 3
	v_fma_f32 v15, v21, 2.0, -v13
	v_fma_f32 v19, v24, 2.0, -v17
	s_barrier
	ds_write2_b64 v20, v[6:7], v[10:11] offset1:8
	ds_write2_b64 v20, v[14:15], v[18:19] offset0:16 offset1:24
	ds_write2_b64 v20, v[4:5], v[8:9] offset0:32 offset1:40
	;; [unrolled: 1-line block ×3, first 2 shown]
	v_mul_u32_u24_e32 v4, 3, v23
	v_lshlrev_b32_e32 v8, 3, v4
	s_waitcnt lgkmcnt(0)
	s_barrier
	global_load_dwordx4 v[4:7], v8, s[8:9]
	global_load_dwordx2 v[20:21], v8, s[8:9] offset:16
	ds_read2st64_b64 v[8:11], v3 offset0:6 offset1:8
	ds_read2st64_b64 v[12:15], v3 offset1:4
	ds_read2st64_b64 v[16:19], v3 offset0:10 offset1:12
	v_lshrrev_b32_e32 v0, 1, v0
	s_movk_i32 s7, 0x1e0
	v_and_or_b32 v0, v0, s7, v23
	v_lshlrev_b32_e32 v0, 6, v0
	v_add3_u32 v0, 0, v0, v22
	s_movk_i32 s7, 0x3e0
	s_mov_b32 s3, 0
	s_waitcnt vmcnt(1) lgkmcnt(2)
	v_mul_f32_e32 v26, v5, v9
	v_mul_f32_e32 v24, v7, v11
	;; [unrolled: 1-line block ×4, first 2 shown]
	v_fmac_f32_e32 v26, v4, v8
	s_waitcnt lgkmcnt(1)
	v_mul_f32_e32 v8, v5, v15
	v_mul_f32_e32 v5, v5, v14
	v_fmac_f32_e32 v24, v6, v10
	v_fma_f32 v10, v6, v11, -v25
	v_fma_f32 v25, v4, v9, -v27
	v_fmac_f32_e32 v8, v4, v14
	v_fma_f32 v9, v4, v15, -v5
	s_waitcnt lgkmcnt(0)
	v_mul_f32_e32 v27, v7, v17
	v_mul_f32_e32 v4, v7, v16
	v_fmac_f32_e32 v27, v6, v16
	v_fma_f32 v16, v6, v17, -v4
	ds_read_b64 v[6:7], v3 offset:7168
	s_waitcnt vmcnt(0)
	v_mul_f32_e32 v4, v21, v18
	v_add_u32_e32 v5, 16, v1
	v_fma_f32 v14, v20, v19, -v4
	v_lshlrev_b32_e32 v4, 6, v5
	s_waitcnt lgkmcnt(0)
	v_mul_f32_e32 v17, v21, v7
	v_mul_f32_e32 v11, v21, v19
	v_add3_u32 v4, 0, v4, v22
	v_fmac_f32_e32 v17, v20, v6
	v_mul_f32_e32 v6, v21, v6
	v_fmac_f32_e32 v11, v20, v18
	v_fma_f32 v18, v20, v7, -v6
	ds_read_b64 v[6:7], v4
	v_sub_f32_e32 v15, v12, v24
	v_sub_f32_e32 v19, v13, v10
	;; [unrolled: 1-line block ×3, first 2 shown]
	v_fma_f32 v10, v12, 2.0, -v15
	v_fma_f32 v12, v13, 2.0, -v19
	v_sub_f32_e32 v13, v8, v11
	v_fma_f32 v9, v9, 2.0, -v14
	v_fma_f32 v8, v8, 2.0, -v13
	v_sub_f32_e32 v9, v12, v9
	v_sub_f32_e32 v8, v10, v8
	v_fma_f32 v11, v12, 2.0, -v9
	v_add_f32_e32 v12, v15, v14
	v_sub_f32_e32 v13, v19, v13
	v_fma_f32 v10, v10, 2.0, -v8
	v_fma_f32 v14, v15, 2.0, -v12
	;; [unrolled: 1-line block ×3, first 2 shown]
	s_waitcnt lgkmcnt(0)
	v_sub_f32_e32 v21, v7, v16
	v_sub_f32_e32 v18, v25, v18
	;; [unrolled: 1-line block ×3, first 2 shown]
	v_fma_f32 v19, v7, 2.0, -v21
	v_sub_f32_e32 v24, v26, v17
	v_fma_f32 v7, v25, 2.0, -v18
	s_barrier
	ds_write2st64_b64 v0, v[10:11], v[14:15] offset1:1
	ds_write2st64_b64 v0, v[8:9], v[12:13] offset0:2 offset1:3
	v_lshlrev_b32_e32 v0, 2, v5
	v_fma_f32 v16, v6, 2.0, -v20
	v_fma_f32 v6, v26, 2.0, -v24
	v_sub_f32_e32 v7, v19, v7
	v_and_or_b32 v8, v0, s7, v23
	v_sub_f32_e32 v6, v16, v6
	v_fma_f32 v17, v19, 2.0, -v7
	v_add_f32_e32 v18, v20, v18
	v_sub_f32_e32 v19, v21, v24
	v_lshlrev_b32_e32 v8, 6, v8
	v_fma_f32 v16, v16, 2.0, -v6
	v_fma_f32 v20, v20, 2.0, -v18
	;; [unrolled: 1-line block ×3, first 2 shown]
	v_add3_u32 v8, 0, v8, v22
	ds_write2st64_b64 v8, v[16:17], v[20:21] offset1:1
	ds_write2st64_b64 v8, v[6:7], v[18:19] offset0:2 offset1:3
	v_or_b32_e32 v6, s29, v2
	v_cmp_gt_u32_e32 vcc, s16, v6
	s_or_b64 s[12:13], s[12:13], vcc
	s_waitcnt lgkmcnt(0)
	s_barrier
	s_and_saveexec_b64 s[14:15], s[12:13]
	s_cbranch_execz .LBB0_9
; %bb.8:
	v_mul_u32_u24_e32 v6, 3, v1
	v_lshlrev_b32_e32 v13, 3, v6
	global_load_dwordx2 v[21:22], v13, s[8:9] offset:208
	v_and_b32_e32 v25, 31, v5
	v_mul_u32_u24_e32 v5, 3, v25
	v_lshlrev_b32_e32 v14, 3, v5
	global_load_dwordx4 v[5:8], v14, s[8:9] offset:192
	global_load_dwordx4 v[9:12], v13, s[8:9] offset:192
	global_load_dwordx2 v[23:24], v14, s[8:9] offset:208
	ds_read2st64_b64 v[13:16], v3 offset0:10 offset1:12
	ds_read2st64_b64 v[17:20], v3 offset0:6 offset1:8
	s_mul_i32 s14, s11, s17
	s_mul_hi_u32 s15, s10, s17
	s_mul_i32 s8, s10, s17
	s_load_dwordx2 s[4:5], s[4:5], 0x60
	s_mul_i32 s7, s1, s29
	s_mul_hi_u32 s9, s0, s29
	s_mul_i32 s12, s0, s29
	s_add_i32 s13, s9, s7
	s_add_i32 s9, s15, s14
	s_mul_i32 s2, s28, s2
	v_mul_lo_u32 v1, v1, s6
	s_waitcnt vmcnt(3) lgkmcnt(0)
	v_mul_f32_e32 v26, v22, v16
	v_mul_f32_e32 v22, v22, v15
	v_fmac_f32_e32 v26, v21, v15
	v_fma_f32 v15, v21, v16, -v22
	s_waitcnt vmcnt(2)
	v_mul_f32_e32 v21, v8, v14
	v_mul_f32_e32 v16, v8, v13
	v_fmac_f32_e32 v21, v7, v13
	v_mul_f32_e32 v13, v6, v18
	v_mul_f32_e32 v6, v6, v17
	v_fma_f32 v14, v7, v14, -v16
	v_fmac_f32_e32 v13, v5, v17
	v_fma_f32 v16, v5, v18, -v6
	ds_read2st64_b64 v[5:8], v3 offset1:4
	s_waitcnt vmcnt(1)
	v_mul_f32_e32 v17, v12, v19
	v_mul_f32_e32 v18, v12, v20
	v_fma_f32 v17, v11, v20, -v17
	v_fmac_f32_e32 v18, v11, v19
	v_mad_u64_u32 v[11:12], s[10:11], s0, v2, 0
	s_waitcnt lgkmcnt(0)
	v_mul_f32_e32 v19, v10, v8
	v_mul_f32_e32 v10, v10, v7
	v_fmac_f32_e32 v19, v9, v7
	v_fma_f32 v20, v9, v8, -v10
	ds_read_b64 v[7:8], v4
	ds_read_b64 v[3:4], v3 offset:7168
	v_mov_b32_e32 v9, v12
	v_mad_u64_u32 v[9:10], s[0:1], s1, v2, v[9:10]
	s_lshl_b64 s[0:1], s[12:13], 3
	s_add_u32 s4, s4, s0
	v_mov_b32_e32 v12, v9
	s_waitcnt vmcnt(0) lgkmcnt(0)
	v_mul_f32_e32 v9, v4, v24
	v_mul_f32_e32 v10, v24, v3
	s_addc_u32 s5, s5, s1
	s_lshl_b64 s[0:1], s[2:3], 3
	v_fmac_f32_e32 v9, v23, v3
	v_fma_f32 v3, v4, v23, -v10
	s_add_u32 s2, s4, s0
	v_sub_f32_e32 v10, v6, v17
	v_sub_f32_e32 v17, v19, v26
	;; [unrolled: 1-line block ×8, first 2 shown]
	s_addc_u32 s3, s5, s1
	s_lshl_b64 s[0:1], s[8:9], 3
	v_sub_f32_e32 v4, v10, v17
	v_add_f32_e32 v3, v18, v15
	v_fma_f32 v23, v6, 2.0, -v10
	v_fma_f32 v15, v20, 2.0, -v15
	;; [unrolled: 1-line block ×4, first 2 shown]
	v_add_f32_e32 v5, v21, v22
	v_fma_f32 v19, v8, 2.0, -v14
	v_fma_f32 v16, v16, 2.0, -v22
	;; [unrolled: 1-line block ×4, first 2 shown]
	s_add_u32 s0, s2, s0
	v_lshlrev_b64 v[11:12], 3, v[11:12]
	v_sub_f32_e32 v6, v14, v9
	v_fma_f32 v8, v10, 2.0, -v4
	v_sub_f32_e32 v10, v23, v15
	v_sub_f32_e32 v9, v20, v17
	;; [unrolled: 1-line block ×4, first 2 shown]
	s_addc_u32 s1, s3, s1
	v_mov_b32_e32 v2, 0
	v_fma_f32 v13, v21, 2.0, -v5
	v_fma_f32 v17, v20, 2.0, -v9
	;; [unrolled: 1-line block ×4, first 2 shown]
	v_mov_b32_e32 v21, s1
	v_add_co_u32_e32 v22, vcc, s0, v11
	v_addc_co_u32_e32 v21, vcc, v21, v12, vcc
	v_lshlrev_b64 v[11:12], 3, v[1:2]
	s_lshl_b32 s0, s6, 5
	v_add_co_u32_e32 v11, vcc, v22, v11
	v_fma_f32 v7, v18, 2.0, -v3
	v_fma_f32 v18, v23, 2.0, -v10
	v_addc_co_u32_e32 v12, vcc, v21, v12, vcc
	v_add_u32_e32 v1, s0, v1
	global_store_dwordx2 v[11:12], v[17:18], off
	v_lshlrev_b64 v[11:12], 3, v[1:2]
	v_add_u32_e32 v1, s0, v1
	v_add_co_u32_e32 v11, vcc, v22, v11
	v_addc_co_u32_e32 v12, vcc, v21, v12, vcc
	global_store_dwordx2 v[11:12], v[7:8], off
	v_lshlrev_b64 v[7:8], 3, v[1:2]
	s_movk_i32 s1, 0x380
	v_add_co_u32_e32 v7, vcc, v22, v7
	v_addc_co_u32_e32 v8, vcc, v21, v8, vcc
	v_add_u32_e32 v1, s0, v1
	v_and_or_b32 v0, v0, s1, v25
	global_store_dwordx2 v[7:8], v[9:10], off
	v_lshlrev_b64 v[7:8], 3, v[1:2]
	v_mul_lo_u32 v1, v0, s6
	v_add_co_u32_e32 v7, vcc, v22, v7
	v_addc_co_u32_e32 v8, vcc, v21, v8, vcc
	global_store_dwordx2 v[7:8], v[3:4], off
	v_lshlrev_b64 v[3:4], 3, v[1:2]
	v_add_u32_e32 v1, s0, v1
	v_add_co_u32_e32 v3, vcc, v22, v3
	v_addc_co_u32_e32 v4, vcc, v21, v4, vcc
	global_store_dwordx2 v[3:4], v[19:20], off
	v_lshlrev_b64 v[3:4], 3, v[1:2]
	v_fma_f32 v14, v14, 2.0, -v6
	v_add_co_u32_e32 v3, vcc, v22, v3
	v_addc_co_u32_e32 v4, vcc, v21, v4, vcc
	v_add_u32_e32 v1, s0, v1
	global_store_dwordx2 v[3:4], v[13:14], off
	v_lshlrev_b64 v[3:4], 3, v[1:2]
	v_add_u32_e32 v1, s0, v1
	v_add_co_u32_e32 v3, vcc, v22, v3
	v_lshlrev_b64 v[0:1], 3, v[1:2]
	v_addc_co_u32_e32 v4, vcc, v21, v4, vcc
	v_add_co_u32_e32 v0, vcc, v22, v0
	v_addc_co_u32_e32 v1, vcc, v21, v1, vcc
	global_store_dwordx2 v[3:4], v[15:16], off
	global_store_dwordx2 v[0:1], v[5:6], off
.LBB0_9:
	s_endpgm
	.section	.rodata,"a",@progbits
	.p2align	6, 0x0
	.amdhsa_kernel fft_rtc_back_len128_factors_8_4_4_wgs_128_tpt_16_sp_op_CI_CI_sbrc_z_xy_unaligned_dirReg
		.amdhsa_group_segment_fixed_size 0
		.amdhsa_private_segment_fixed_size 0
		.amdhsa_kernarg_size 104
		.amdhsa_user_sgpr_count 6
		.amdhsa_user_sgpr_private_segment_buffer 1
		.amdhsa_user_sgpr_dispatch_ptr 0
		.amdhsa_user_sgpr_queue_ptr 0
		.amdhsa_user_sgpr_kernarg_segment_ptr 1
		.amdhsa_user_sgpr_dispatch_id 0
		.amdhsa_user_sgpr_flat_scratch_init 0
		.amdhsa_user_sgpr_private_segment_size 0
		.amdhsa_uses_dynamic_stack 0
		.amdhsa_system_sgpr_private_segment_wavefront_offset 0
		.amdhsa_system_sgpr_workgroup_id_x 1
		.amdhsa_system_sgpr_workgroup_id_y 0
		.amdhsa_system_sgpr_workgroup_id_z 0
		.amdhsa_system_sgpr_workgroup_info 0
		.amdhsa_system_vgpr_workitem_id 0
		.amdhsa_next_free_vgpr 28
		.amdhsa_next_free_sgpr 30
		.amdhsa_reserve_vcc 1
		.amdhsa_reserve_flat_scratch 0
		.amdhsa_float_round_mode_32 0
		.amdhsa_float_round_mode_16_64 0
		.amdhsa_float_denorm_mode_32 3
		.amdhsa_float_denorm_mode_16_64 3
		.amdhsa_dx10_clamp 1
		.amdhsa_ieee_mode 1
		.amdhsa_fp16_overflow 0
		.amdhsa_exception_fp_ieee_invalid_op 0
		.amdhsa_exception_fp_denorm_src 0
		.amdhsa_exception_fp_ieee_div_zero 0
		.amdhsa_exception_fp_ieee_overflow 0
		.amdhsa_exception_fp_ieee_underflow 0
		.amdhsa_exception_fp_ieee_inexact 0
		.amdhsa_exception_int_div_zero 0
	.end_amdhsa_kernel
	.text
.Lfunc_end0:
	.size	fft_rtc_back_len128_factors_8_4_4_wgs_128_tpt_16_sp_op_CI_CI_sbrc_z_xy_unaligned_dirReg, .Lfunc_end0-fft_rtc_back_len128_factors_8_4_4_wgs_128_tpt_16_sp_op_CI_CI_sbrc_z_xy_unaligned_dirReg
                                        ; -- End function
	.section	.AMDGPU.csdata,"",@progbits
; Kernel info:
; codeLenInByte = 2720
; NumSgprs: 34
; NumVgprs: 28
; ScratchSize: 0
; MemoryBound: 0
; FloatMode: 240
; IeeeMode: 1
; LDSByteSize: 0 bytes/workgroup (compile time only)
; SGPRBlocks: 4
; VGPRBlocks: 6
; NumSGPRsForWavesPerEU: 34
; NumVGPRsForWavesPerEU: 28
; Occupancy: 8
; WaveLimiterHint : 1
; COMPUTE_PGM_RSRC2:SCRATCH_EN: 0
; COMPUTE_PGM_RSRC2:USER_SGPR: 6
; COMPUTE_PGM_RSRC2:TRAP_HANDLER: 0
; COMPUTE_PGM_RSRC2:TGID_X_EN: 1
; COMPUTE_PGM_RSRC2:TGID_Y_EN: 0
; COMPUTE_PGM_RSRC2:TGID_Z_EN: 0
; COMPUTE_PGM_RSRC2:TIDIG_COMP_CNT: 0
	.type	__hip_cuid_6c5a67514ea15197,@object ; @__hip_cuid_6c5a67514ea15197
	.section	.bss,"aw",@nobits
	.globl	__hip_cuid_6c5a67514ea15197
__hip_cuid_6c5a67514ea15197:
	.byte	0                               ; 0x0
	.size	__hip_cuid_6c5a67514ea15197, 1

	.ident	"AMD clang version 19.0.0git (https://github.com/RadeonOpenCompute/llvm-project roc-6.4.0 25133 c7fe45cf4b819c5991fe208aaa96edf142730f1d)"
	.section	".note.GNU-stack","",@progbits
	.addrsig
	.addrsig_sym __hip_cuid_6c5a67514ea15197
	.amdgpu_metadata
---
amdhsa.kernels:
  - .args:
      - .actual_access:  read_only
        .address_space:  global
        .offset:         0
        .size:           8
        .value_kind:     global_buffer
      - .offset:         8
        .size:           8
        .value_kind:     by_value
      - .actual_access:  read_only
        .address_space:  global
        .offset:         16
        .size:           8
        .value_kind:     global_buffer
      - .actual_access:  read_only
        .address_space:  global
        .offset:         24
        .size:           8
        .value_kind:     global_buffer
      - .actual_access:  read_only
        .address_space:  global
        .offset:         32
        .size:           8
        .value_kind:     global_buffer
      - .offset:         40
        .size:           8
        .value_kind:     by_value
      - .actual_access:  read_only
        .address_space:  global
        .offset:         48
        .size:           8
        .value_kind:     global_buffer
      - .actual_access:  read_only
        .address_space:  global
        .offset:         56
        .size:           8
        .value_kind:     global_buffer
      - .offset:         64
        .size:           4
        .value_kind:     by_value
      - .actual_access:  read_only
        .address_space:  global
        .offset:         72
        .size:           8
        .value_kind:     global_buffer
      - .actual_access:  read_only
        .address_space:  global
        .offset:         80
        .size:           8
        .value_kind:     global_buffer
      - .actual_access:  read_only
        .address_space:  global
        .offset:         88
        .size:           8
        .value_kind:     global_buffer
      - .actual_access:  write_only
        .address_space:  global
        .offset:         96
        .size:           8
        .value_kind:     global_buffer
    .group_segment_fixed_size: 0
    .kernarg_segment_align: 8
    .kernarg_segment_size: 104
    .language:       OpenCL C
    .language_version:
      - 2
      - 0
    .max_flat_workgroup_size: 128
    .name:           fft_rtc_back_len128_factors_8_4_4_wgs_128_tpt_16_sp_op_CI_CI_sbrc_z_xy_unaligned_dirReg
    .private_segment_fixed_size: 0
    .sgpr_count:     34
    .sgpr_spill_count: 0
    .symbol:         fft_rtc_back_len128_factors_8_4_4_wgs_128_tpt_16_sp_op_CI_CI_sbrc_z_xy_unaligned_dirReg.kd
    .uniform_work_group_size: 1
    .uses_dynamic_stack: false
    .vgpr_count:     28
    .vgpr_spill_count: 0
    .wavefront_size: 64
amdhsa.target:   amdgcn-amd-amdhsa--gfx906
amdhsa.version:
  - 1
  - 2
...

	.end_amdgpu_metadata
